;; amdgpu-corpus repo=ROCm/rocFFT kind=compiled arch=gfx1201 opt=O3
	.text
	.amdgcn_target "amdgcn-amd-amdhsa--gfx1201"
	.amdhsa_code_object_version 6
	.protected	fft_rtc_fwd_len110_factors_2_5_11_wgs_198_tpt_11_dp_op_CI_CI_unitstride_sbrr_C2R_dirReg ; -- Begin function fft_rtc_fwd_len110_factors_2_5_11_wgs_198_tpt_11_dp_op_CI_CI_unitstride_sbrr_C2R_dirReg
	.globl	fft_rtc_fwd_len110_factors_2_5_11_wgs_198_tpt_11_dp_op_CI_CI_unitstride_sbrr_C2R_dirReg
	.p2align	8
	.type	fft_rtc_fwd_len110_factors_2_5_11_wgs_198_tpt_11_dp_op_CI_CI_unitstride_sbrr_C2R_dirReg,@function
fft_rtc_fwd_len110_factors_2_5_11_wgs_198_tpt_11_dp_op_CI_CI_unitstride_sbrr_C2R_dirReg: ; @fft_rtc_fwd_len110_factors_2_5_11_wgs_198_tpt_11_dp_op_CI_CI_unitstride_sbrr_C2R_dirReg
; %bb.0:
	s_load_b128 s[8:11], s[0:1], 0x0
	v_mul_u32_u24_e32 v1, 0x1746, v0
	s_clause 0x1
	s_load_b128 s[4:7], s[0:1], 0x58
	s_load_b128 s[12:15], s[0:1], 0x18
	v_mov_b32_e32 v5, 0
	v_lshrrev_b32_e32 v3, 16, v1
	v_mov_b32_e32 v1, 0
	v_mov_b32_e32 v2, 0
	s_delay_alu instid0(VALU_DEP_3) | instskip(NEXT) | instid1(VALU_DEP_2)
	v_mad_co_u64_u32 v[3:4], null, ttmp9, 18, v[3:4]
	v_dual_mov_b32 v4, v5 :: v_dual_mov_b32 v81, v2
	s_delay_alu instid0(VALU_DEP_1) | instskip(NEXT) | instid1(VALU_DEP_3)
	v_dual_mov_b32 v80, v1 :: v_dual_mov_b32 v85, v4
	v_mov_b32_e32 v84, v3
	s_wait_kmcnt 0x0
	v_cmp_lt_u64_e64 s2, s[10:11], 2
	s_delay_alu instid0(VALU_DEP_1)
	s_and_b32 vcc_lo, exec_lo, s2
	s_cbranch_vccnz .LBB0_8
; %bb.1:
	s_load_b64 s[2:3], s[0:1], 0x10
	v_dual_mov_b32 v1, 0 :: v_dual_mov_b32 v8, v4
	v_dual_mov_b32 v2, 0 :: v_dual_mov_b32 v7, v3
	s_add_nc_u64 s[16:17], s[14:15], 8
	s_add_nc_u64 s[18:19], s[12:13], 8
	s_mov_b64 s[20:21], 1
	s_delay_alu instid0(VALU_DEP_1)
	v_dual_mov_b32 v81, v2 :: v_dual_mov_b32 v80, v1
	s_wait_kmcnt 0x0
	s_add_nc_u64 s[22:23], s[2:3], 8
	s_mov_b32 s3, 0
.LBB0_2:                                ; =>This Inner Loop Header: Depth=1
	s_load_b64 s[24:25], s[22:23], 0x0
                                        ; implicit-def: $vgpr84_vgpr85
	s_mov_b32 s2, exec_lo
	s_wait_kmcnt 0x0
	v_or_b32_e32 v6, s25, v8
	s_delay_alu instid0(VALU_DEP_1)
	v_cmpx_ne_u64_e32 0, v[5:6]
	s_wait_alu 0xfffe
	s_xor_b32 s26, exec_lo, s2
	s_cbranch_execz .LBB0_4
; %bb.3:                                ;   in Loop: Header=BB0_2 Depth=1
	s_cvt_f32_u32 s2, s24
	s_cvt_f32_u32 s27, s25
	s_sub_nc_u64 s[30:31], 0, s[24:25]
	s_wait_alu 0xfffe
	s_delay_alu instid0(SALU_CYCLE_1) | instskip(SKIP_1) | instid1(SALU_CYCLE_2)
	s_fmamk_f32 s2, s27, 0x4f800000, s2
	s_wait_alu 0xfffe
	v_s_rcp_f32 s2, s2
	s_delay_alu instid0(TRANS32_DEP_1) | instskip(SKIP_1) | instid1(SALU_CYCLE_2)
	s_mul_f32 s2, s2, 0x5f7ffffc
	s_wait_alu 0xfffe
	s_mul_f32 s27, s2, 0x2f800000
	s_wait_alu 0xfffe
	s_delay_alu instid0(SALU_CYCLE_2) | instskip(SKIP_1) | instid1(SALU_CYCLE_2)
	s_trunc_f32 s27, s27
	s_wait_alu 0xfffe
	s_fmamk_f32 s2, s27, 0xcf800000, s2
	s_cvt_u32_f32 s29, s27
	s_wait_alu 0xfffe
	s_delay_alu instid0(SALU_CYCLE_1) | instskip(SKIP_1) | instid1(SALU_CYCLE_2)
	s_cvt_u32_f32 s28, s2
	s_wait_alu 0xfffe
	s_mul_u64 s[34:35], s[30:31], s[28:29]
	s_wait_alu 0xfffe
	s_mul_hi_u32 s37, s28, s35
	s_mul_i32 s36, s28, s35
	s_mul_hi_u32 s2, s28, s34
	s_mul_i32 s33, s29, s34
	s_wait_alu 0xfffe
	s_add_nc_u64 s[36:37], s[2:3], s[36:37]
	s_mul_hi_u32 s27, s29, s34
	s_mul_hi_u32 s38, s29, s35
	s_add_co_u32 s2, s36, s33
	s_wait_alu 0xfffe
	s_add_co_ci_u32 s2, s37, s27
	s_mul_i32 s34, s29, s35
	s_add_co_ci_u32 s35, s38, 0
	s_wait_alu 0xfffe
	s_add_nc_u64 s[34:35], s[2:3], s[34:35]
	s_wait_alu 0xfffe
	v_add_co_u32 v4, s2, s28, s34
	s_delay_alu instid0(VALU_DEP_1) | instskip(SKIP_1) | instid1(VALU_DEP_1)
	s_cmp_lg_u32 s2, 0
	s_add_co_ci_u32 s29, s29, s35
	v_readfirstlane_b32 s28, v4
	s_wait_alu 0xfffe
	s_delay_alu instid0(VALU_DEP_1)
	s_mul_u64 s[30:31], s[30:31], s[28:29]
	s_wait_alu 0xfffe
	s_mul_hi_u32 s35, s28, s31
	s_mul_i32 s34, s28, s31
	s_mul_hi_u32 s2, s28, s30
	s_mul_i32 s33, s29, s30
	s_wait_alu 0xfffe
	s_add_nc_u64 s[34:35], s[2:3], s[34:35]
	s_mul_hi_u32 s27, s29, s30
	s_mul_hi_u32 s28, s29, s31
	s_wait_alu 0xfffe
	s_add_co_u32 s2, s34, s33
	s_add_co_ci_u32 s2, s35, s27
	s_mul_i32 s30, s29, s31
	s_add_co_ci_u32 s31, s28, 0
	s_wait_alu 0xfffe
	s_add_nc_u64 s[30:31], s[2:3], s[30:31]
	s_wait_alu 0xfffe
	v_add_co_u32 v4, s2, v4, s30
	s_delay_alu instid0(VALU_DEP_1) | instskip(SKIP_1) | instid1(VALU_DEP_1)
	s_cmp_lg_u32 s2, 0
	s_add_co_ci_u32 s2, s29, s31
	v_mul_hi_u32 v6, v7, v4
	s_wait_alu 0xfffe
	v_mad_co_u64_u32 v[9:10], null, v7, s2, 0
	v_mad_co_u64_u32 v[11:12], null, v8, v4, 0
	;; [unrolled: 1-line block ×3, first 2 shown]
	s_delay_alu instid0(VALU_DEP_3) | instskip(SKIP_1) | instid1(VALU_DEP_4)
	v_add_co_u32 v4, vcc_lo, v6, v9
	s_wait_alu 0xfffd
	v_add_co_ci_u32_e32 v6, vcc_lo, 0, v10, vcc_lo
	s_delay_alu instid0(VALU_DEP_2) | instskip(SKIP_1) | instid1(VALU_DEP_2)
	v_add_co_u32 v4, vcc_lo, v4, v11
	s_wait_alu 0xfffd
	v_add_co_ci_u32_e32 v4, vcc_lo, v6, v12, vcc_lo
	s_wait_alu 0xfffd
	v_add_co_ci_u32_e32 v6, vcc_lo, 0, v14, vcc_lo
	s_delay_alu instid0(VALU_DEP_2) | instskip(SKIP_1) | instid1(VALU_DEP_2)
	v_add_co_u32 v4, vcc_lo, v4, v13
	s_wait_alu 0xfffd
	v_add_co_ci_u32_e32 v6, vcc_lo, 0, v6, vcc_lo
	s_delay_alu instid0(VALU_DEP_2) | instskip(SKIP_1) | instid1(VALU_DEP_3)
	v_mul_lo_u32 v11, s25, v4
	v_mad_co_u64_u32 v[9:10], null, s24, v4, 0
	v_mul_lo_u32 v12, s24, v6
	s_delay_alu instid0(VALU_DEP_2) | instskip(NEXT) | instid1(VALU_DEP_2)
	v_sub_co_u32 v9, vcc_lo, v7, v9
	v_add3_u32 v10, v10, v12, v11
	s_delay_alu instid0(VALU_DEP_1) | instskip(SKIP_1) | instid1(VALU_DEP_1)
	v_sub_nc_u32_e32 v11, v8, v10
	s_wait_alu 0xfffd
	v_subrev_co_ci_u32_e64 v11, s2, s25, v11, vcc_lo
	v_add_co_u32 v12, s2, v4, 2
	s_wait_alu 0xf1ff
	v_add_co_ci_u32_e64 v13, s2, 0, v6, s2
	v_sub_co_u32 v14, s2, v9, s24
	v_sub_co_ci_u32_e32 v10, vcc_lo, v8, v10, vcc_lo
	s_wait_alu 0xf1ff
	v_subrev_co_ci_u32_e64 v11, s2, 0, v11, s2
	s_delay_alu instid0(VALU_DEP_3) | instskip(NEXT) | instid1(VALU_DEP_3)
	v_cmp_le_u32_e32 vcc_lo, s24, v14
	v_cmp_eq_u32_e64 s2, s25, v10
	s_wait_alu 0xfffd
	v_cndmask_b32_e64 v14, 0, -1, vcc_lo
	v_cmp_le_u32_e32 vcc_lo, s25, v11
	s_wait_alu 0xfffd
	v_cndmask_b32_e64 v15, 0, -1, vcc_lo
	v_cmp_le_u32_e32 vcc_lo, s24, v9
	;; [unrolled: 3-line block ×3, first 2 shown]
	s_wait_alu 0xfffd
	v_cndmask_b32_e64 v16, 0, -1, vcc_lo
	v_cmp_eq_u32_e32 vcc_lo, s25, v11
	s_wait_alu 0xf1ff
	s_delay_alu instid0(VALU_DEP_2)
	v_cndmask_b32_e64 v9, v16, v9, s2
	s_wait_alu 0xfffd
	v_cndmask_b32_e32 v11, v15, v14, vcc_lo
	v_add_co_u32 v14, vcc_lo, v4, 1
	s_wait_alu 0xfffd
	v_add_co_ci_u32_e32 v15, vcc_lo, 0, v6, vcc_lo
	s_delay_alu instid0(VALU_DEP_3) | instskip(SKIP_1) | instid1(VALU_DEP_2)
	v_cmp_ne_u32_e32 vcc_lo, 0, v11
	s_wait_alu 0xfffd
	v_dual_cndmask_b32 v10, v15, v13 :: v_dual_cndmask_b32 v11, v14, v12
	v_cmp_ne_u32_e32 vcc_lo, 0, v9
	s_wait_alu 0xfffd
	s_delay_alu instid0(VALU_DEP_2)
	v_dual_cndmask_b32 v85, v6, v10 :: v_dual_cndmask_b32 v84, v4, v11
.LBB0_4:                                ;   in Loop: Header=BB0_2 Depth=1
	s_wait_alu 0xfffe
	s_and_not1_saveexec_b32 s2, s26
	s_cbranch_execz .LBB0_6
; %bb.5:                                ;   in Loop: Header=BB0_2 Depth=1
	v_cvt_f32_u32_e32 v4, s24
	s_sub_co_i32 s26, 0, s24
	v_mov_b32_e32 v85, v5
	s_delay_alu instid0(VALU_DEP_2) | instskip(NEXT) | instid1(TRANS32_DEP_1)
	v_rcp_iflag_f32_e32 v4, v4
	v_mul_f32_e32 v4, 0x4f7ffffe, v4
	s_delay_alu instid0(VALU_DEP_1) | instskip(SKIP_1) | instid1(VALU_DEP_1)
	v_cvt_u32_f32_e32 v4, v4
	s_wait_alu 0xfffe
	v_mul_lo_u32 v6, s26, v4
	s_delay_alu instid0(VALU_DEP_1) | instskip(NEXT) | instid1(VALU_DEP_1)
	v_mul_hi_u32 v6, v4, v6
	v_add_nc_u32_e32 v4, v4, v6
	s_delay_alu instid0(VALU_DEP_1) | instskip(NEXT) | instid1(VALU_DEP_1)
	v_mul_hi_u32 v4, v7, v4
	v_mul_lo_u32 v6, v4, s24
	s_delay_alu instid0(VALU_DEP_1) | instskip(NEXT) | instid1(VALU_DEP_1)
	v_sub_nc_u32_e32 v6, v7, v6
	v_subrev_nc_u32_e32 v10, s24, v6
	v_cmp_le_u32_e32 vcc_lo, s24, v6
	s_wait_alu 0xfffd
	s_delay_alu instid0(VALU_DEP_2) | instskip(NEXT) | instid1(VALU_DEP_1)
	v_dual_cndmask_b32 v6, v6, v10 :: v_dual_add_nc_u32 v9, 1, v4
	v_cndmask_b32_e32 v4, v4, v9, vcc_lo
	s_delay_alu instid0(VALU_DEP_2) | instskip(NEXT) | instid1(VALU_DEP_2)
	v_cmp_le_u32_e32 vcc_lo, s24, v6
	v_add_nc_u32_e32 v9, 1, v4
	s_wait_alu 0xfffd
	s_delay_alu instid0(VALU_DEP_1)
	v_cndmask_b32_e32 v84, v4, v9, vcc_lo
.LBB0_6:                                ;   in Loop: Header=BB0_2 Depth=1
	s_wait_alu 0xfffe
	s_or_b32 exec_lo, exec_lo, s2
	v_mul_lo_u32 v4, v85, s24
	s_delay_alu instid0(VALU_DEP_2)
	v_mul_lo_u32 v6, v84, s25
	s_load_b64 s[26:27], s[18:19], 0x0
	v_mad_co_u64_u32 v[9:10], null, v84, s24, 0
	s_load_b64 s[24:25], s[16:17], 0x0
	s_add_nc_u64 s[20:21], s[20:21], 1
	s_add_nc_u64 s[16:17], s[16:17], 8
	s_wait_alu 0xfffe
	v_cmp_ge_u64_e64 s2, s[20:21], s[10:11]
	s_add_nc_u64 s[18:19], s[18:19], 8
	s_add_nc_u64 s[22:23], s[22:23], 8
	v_add3_u32 v4, v10, v6, v4
	v_sub_co_u32 v6, vcc_lo, v7, v9
	s_wait_alu 0xfffd
	s_delay_alu instid0(VALU_DEP_2) | instskip(SKIP_2) | instid1(VALU_DEP_1)
	v_sub_co_ci_u32_e32 v4, vcc_lo, v8, v4, vcc_lo
	s_and_b32 vcc_lo, exec_lo, s2
	s_wait_kmcnt 0x0
	v_mul_lo_u32 v7, s26, v4
	v_mul_lo_u32 v8, s27, v6
	v_mad_co_u64_u32 v[1:2], null, s26, v6, v[1:2]
	v_mul_lo_u32 v4, s24, v4
	v_mul_lo_u32 v9, s25, v6
	v_mad_co_u64_u32 v[80:81], null, s24, v6, v[80:81]
	s_delay_alu instid0(VALU_DEP_4) | instskip(NEXT) | instid1(VALU_DEP_2)
	v_add3_u32 v2, v8, v2, v7
	v_add3_u32 v81, v9, v81, v4
	s_wait_alu 0xfffe
	s_cbranch_vccnz .LBB0_8
; %bb.7:                                ;   in Loop: Header=BB0_2 Depth=1
	v_dual_mov_b32 v7, v84 :: v_dual_mov_b32 v8, v85
	s_branch .LBB0_2
.LBB0_8:
	s_load_b64 s[0:1], s[0:1], 0x28
	v_mul_hi_u32 v4, 0x38e38e39, v3
	s_lshl_b64 s[10:11], s[10:11], 3
                                        ; implicit-def: $vgpr82
	s_wait_alu 0xfffe
	s_add_nc_u64 s[2:3], s[14:15], s[10:11]
	s_delay_alu instid0(VALU_DEP_1) | instskip(NEXT) | instid1(VALU_DEP_1)
	v_lshrrev_b32_e32 v4, 2, v4
	v_mul_lo_u32 v5, v4, 18
	v_mul_hi_u32 v4, 0x1745d175, v0
	s_wait_kmcnt 0x0
	v_cmp_gt_u64_e32 vcc_lo, s[0:1], v[84:85]
	v_cmp_le_u64_e64 s0, s[0:1], v[84:85]
	s_delay_alu instid0(VALU_DEP_4) | instskip(NEXT) | instid1(VALU_DEP_2)
	v_sub_nc_u32_e32 v3, v3, v5
	s_and_saveexec_b32 s1, s0
	s_wait_alu 0xfffe
	s_xor_b32 s0, exec_lo, s1
; %bb.9:
	v_mul_u32_u24_e32 v1, 11, v4
                                        ; implicit-def: $vgpr4
	s_delay_alu instid0(VALU_DEP_1)
	v_sub_nc_u32_e32 v82, v0, v1
                                        ; implicit-def: $vgpr0
                                        ; implicit-def: $vgpr1_vgpr2
; %bb.10:
	s_wait_alu 0xfffe
	s_or_saveexec_b32 s1, s0
	s_load_b64 s[2:3], s[2:3], 0x0
	v_mul_u32_u24_e32 v3, 0x6f, v3
	s_delay_alu instid0(VALU_DEP_1)
	v_lshlrev_b32_e32 v36, 4, v3
	s_xor_b32 exec_lo, exec_lo, s1
	s_cbranch_execz .LBB0_14
; %bb.11:
	s_add_nc_u64 s[10:11], s[12:13], s[10:11]
	v_lshlrev_b64_e32 v[1:2], 4, v[1:2]
	s_load_b64 s[10:11], s[10:11], 0x0
	s_wait_kmcnt 0x0
	v_mul_lo_u32 v7, s11, v84
	v_mul_lo_u32 v8, s10, v85
	v_mad_co_u64_u32 v[5:6], null, s10, v84, 0
	s_delay_alu instid0(VALU_DEP_1) | instskip(SKIP_1) | instid1(VALU_DEP_2)
	v_add3_u32 v6, v6, v8, v7
	v_mul_u32_u24_e32 v7, 11, v4
	v_lshlrev_b64_e32 v[4:5], 4, v[5:6]
	s_delay_alu instid0(VALU_DEP_2) | instskip(NEXT) | instid1(VALU_DEP_1)
	v_sub_nc_u32_e32 v82, v0, v7
	v_lshlrev_b32_e32 v45, 4, v82
	s_delay_alu instid0(VALU_DEP_3) | instskip(SKIP_1) | instid1(VALU_DEP_4)
	v_add_co_u32 v0, s0, s4, v4
	s_wait_alu 0xf1ff
	v_add_co_ci_u32_e64 v4, s0, s5, v5, s0
	s_mov_b32 s4, exec_lo
	s_delay_alu instid0(VALU_DEP_2) | instskip(SKIP_1) | instid1(VALU_DEP_2)
	v_add_co_u32 v0, s0, v0, v1
	s_wait_alu 0xf1ff
	v_add_co_ci_u32_e64 v1, s0, v4, v2, s0
	v_add3_u32 v2, 0, v36, v45
	s_delay_alu instid0(VALU_DEP_3) | instskip(SKIP_1) | instid1(VALU_DEP_3)
	v_add_co_u32 v41, s0, v0, v45
	s_wait_alu 0xf1ff
	v_add_co_ci_u32_e64 v42, s0, 0, v1, s0
	s_clause 0x9
	global_load_b128 v[4:7], v[41:42], off
	global_load_b128 v[8:11], v[41:42], off offset:176
	global_load_b128 v[12:15], v[41:42], off offset:352
	;; [unrolled: 1-line block ×9, first 2 shown]
	s_wait_loadcnt 0x9
	ds_store_b128 v2, v[4:7]
	s_wait_loadcnt 0x8
	ds_store_b128 v2, v[8:11] offset:176
	s_wait_loadcnt 0x7
	ds_store_b128 v2, v[12:15] offset:352
	;; [unrolled: 2-line block ×9, first 2 shown]
	v_cmpx_eq_u32_e32 10, v82
	s_cbranch_execz .LBB0_13
; %bb.12:
	global_load_b128 v[4:7], v[0:1], off offset:1760
	v_mov_b32_e32 v82, 10
	s_wait_loadcnt 0x0
	ds_store_b128 v2, v[4:7] offset:1600
.LBB0_13:
	s_wait_alu 0xfffe
	s_or_b32 exec_lo, exec_lo, s4
.LBB0_14:
	s_delay_alu instid0(SALU_CYCLE_1)
	s_or_b32 exec_lo, exec_lo, s1
	v_lshl_add_u32 v86, v3, 4, 0
	v_lshlrev_b32_e32 v10, 4, v82
	global_wb scope:SCOPE_SE
	s_wait_dscnt 0x0
	s_wait_kmcnt 0x0
	s_barrier_signal -1
	s_barrier_wait -1
	global_inv scope:SCOPE_SE
	v_add_nc_u32_e32 v87, v86, v10
	v_sub_nc_u32_e32 v11, v86, v10
	s_mov_b32 s1, exec_lo
                                        ; implicit-def: $vgpr4_vgpr5
	ds_load_b64 v[6:7], v87
	ds_load_b64 v[8:9], v11 offset:1760
	s_wait_dscnt 0x0
	v_add_f64_e32 v[0:1], v[6:7], v[8:9]
	v_add_f64_e64 v[2:3], v[6:7], -v[8:9]
	v_cmpx_ne_u32_e32 0, v82
	s_wait_alu 0xfffe
	s_xor_b32 s1, exec_lo, s1
	s_cbranch_execz .LBB0_16
; %bb.15:
	v_mov_b32_e32 v83, 0
	v_add_f64_e32 v[14:15], v[6:7], v[8:9]
	v_add_f64_e64 v[16:17], v[6:7], -v[8:9]
	s_delay_alu instid0(VALU_DEP_3) | instskip(NEXT) | instid1(VALU_DEP_1)
	v_lshlrev_b64_e32 v[0:1], 4, v[82:83]
	v_add_co_u32 v0, s0, s8, v0
	s_wait_alu 0xf1ff
	s_delay_alu instid0(VALU_DEP_2)
	v_add_co_ci_u32_e64 v1, s0, s9, v1, s0
	global_load_b128 v[2:5], v[0:1], off offset:1728
	ds_load_b64 v[0:1], v11 offset:1768
	ds_load_b64 v[12:13], v87 offset:8
	s_wait_dscnt 0x0
	v_add_f64_e32 v[6:7], v[0:1], v[12:13]
	v_add_f64_e64 v[0:1], v[12:13], -v[0:1]
	s_wait_loadcnt 0x0
	v_fma_f64 v[8:9], v[16:17], v[4:5], v[14:15]
	v_fma_f64 v[12:13], -v[16:17], v[4:5], v[14:15]
	s_delay_alu instid0(VALU_DEP_3) | instskip(SKIP_1) | instid1(VALU_DEP_4)
	v_fma_f64 v[14:15], v[6:7], v[4:5], -v[0:1]
	v_fma_f64 v[4:5], v[6:7], v[4:5], v[0:1]
	v_fma_f64 v[0:1], -v[6:7], v[2:3], v[8:9]
	s_delay_alu instid0(VALU_DEP_4) | instskip(NEXT) | instid1(VALU_DEP_4)
	v_fma_f64 v[6:7], v[6:7], v[2:3], v[12:13]
	v_fma_f64 v[8:9], v[16:17], v[2:3], v[14:15]
	s_delay_alu instid0(VALU_DEP_4)
	v_fma_f64 v[2:3], v[16:17], v[2:3], v[4:5]
	v_dual_mov_b32 v4, v82 :: v_dual_mov_b32 v5, v83
	ds_store_b128 v11, v[6:9] offset:1760
.LBB0_16:
	s_wait_alu 0xfffe
	s_and_not1_saveexec_b32 s0, s1
	s_cbranch_execz .LBB0_18
; %bb.17:
	ds_load_b128 v[4:7], v86 offset:880
	s_wait_dscnt 0x0
	v_add_f64_e32 v[12:13], v[4:5], v[4:5]
	v_mul_f64_e32 v[14:15], -2.0, v[6:7]
	v_mov_b32_e32 v4, 0
	v_mov_b32_e32 v5, 0
	ds_store_b128 v86, v[12:15] offset:880
.LBB0_18:
	s_wait_alu 0xfffe
	s_or_b32 exec_lo, exec_lo, s0
	v_lshlrev_b64_e32 v[4:5], 4, v[4:5]
	s_add_nc_u64 s[0:1], s[8:9], 0x6c0
	v_add3_u32 v83, 0, v10, v36
	s_mov_b32 s5, 0xbfee6f0e
	s_wait_alu 0xfffe
	s_delay_alu instid0(VALU_DEP_2)
	v_add_co_u32 v24, s0, s0, v4
	s_wait_alu 0xf1ff
	v_add_co_ci_u32_e64 v25, s0, s1, v5, s0
	v_add_nc_u32_e32 v10, v83, v10
	s_mov_b32 s0, 0x134454ff
	s_mov_b32 s1, 0x3fee6f0e
	s_clause 0x1
	global_load_b128 v[4:7], v[24:25], off offset:176
	global_load_b128 v[12:15], v[24:25], off offset:352
	ds_store_b128 v87, v[0:3]
	ds_load_b128 v[0:3], v87 offset:176
	ds_load_b128 v[16:19], v11 offset:1584
	global_load_b128 v[20:23], v[24:25], off offset:528
	s_wait_alu 0xfffe
	s_mov_b32 s4, s0
	s_wait_dscnt 0x0
	v_add_f64_e32 v[8:9], v[0:1], v[16:17]
	v_add_f64_e32 v[26:27], v[18:19], v[2:3]
	v_add_f64_e64 v[16:17], v[0:1], -v[16:17]
	v_add_f64_e64 v[0:1], v[2:3], -v[18:19]
	s_wait_loadcnt 0x2
	s_delay_alu instid0(VALU_DEP_2) | instskip(NEXT) | instid1(VALU_DEP_2)
	v_fma_f64 v[2:3], v[16:17], v[6:7], v[8:9]
	v_fma_f64 v[18:19], v[26:27], v[6:7], v[0:1]
	v_fma_f64 v[8:9], -v[16:17], v[6:7], v[8:9]
	v_fma_f64 v[28:29], v[26:27], v[6:7], -v[0:1]
	s_delay_alu instid0(VALU_DEP_4) | instskip(NEXT) | instid1(VALU_DEP_4)
	v_fma_f64 v[0:1], -v[26:27], v[4:5], v[2:3]
	v_fma_f64 v[2:3], v[16:17], v[4:5], v[18:19]
	s_delay_alu instid0(VALU_DEP_4) | instskip(NEXT) | instid1(VALU_DEP_4)
	v_fma_f64 v[6:7], v[26:27], v[4:5], v[8:9]
	v_fma_f64 v[8:9], v[16:17], v[4:5], v[28:29]
	ds_store_b128 v87, v[0:3] offset:176
	ds_store_b128 v11, v[6:9] offset:1584
	ds_load_b128 v[0:3], v87 offset:352
	ds_load_b128 v[4:7], v11 offset:1408
	global_load_b128 v[16:19], v[24:25], off offset:704
	s_wait_dscnt 0x0
	v_add_f64_e32 v[8:9], v[0:1], v[4:5]
	v_add_f64_e32 v[24:25], v[6:7], v[2:3]
	v_add_f64_e64 v[26:27], v[0:1], -v[4:5]
	v_add_f64_e64 v[0:1], v[2:3], -v[6:7]
	s_wait_loadcnt 0x2
	s_delay_alu instid0(VALU_DEP_2) | instskip(NEXT) | instid1(VALU_DEP_2)
	v_fma_f64 v[2:3], v[26:27], v[14:15], v[8:9]
	v_fma_f64 v[4:5], v[24:25], v[14:15], v[0:1]
	v_fma_f64 v[6:7], -v[26:27], v[14:15], v[8:9]
	v_fma_f64 v[8:9], v[24:25], v[14:15], -v[0:1]
	s_delay_alu instid0(VALU_DEP_4) | instskip(NEXT) | instid1(VALU_DEP_4)
	v_fma_f64 v[0:1], -v[24:25], v[12:13], v[2:3]
	v_fma_f64 v[2:3], v[26:27], v[12:13], v[4:5]
	s_delay_alu instid0(VALU_DEP_4) | instskip(NEXT) | instid1(VALU_DEP_4)
	v_fma_f64 v[4:5], v[24:25], v[12:13], v[6:7]
	v_fma_f64 v[6:7], v[26:27], v[12:13], v[8:9]
	ds_store_b128 v87, v[0:3] offset:352
	ds_store_b128 v11, v[4:7] offset:1408
	ds_load_b128 v[0:3], v87 offset:528
	ds_load_b128 v[4:7], v11 offset:1232
	s_wait_dscnt 0x0
	v_add_f64_e32 v[8:9], v[0:1], v[4:5]
	v_add_f64_e32 v[12:13], v[6:7], v[2:3]
	v_add_f64_e64 v[14:15], v[0:1], -v[4:5]
	v_add_f64_e64 v[0:1], v[2:3], -v[6:7]
	s_wait_loadcnt 0x1
	s_delay_alu instid0(VALU_DEP_2) | instskip(NEXT) | instid1(VALU_DEP_2)
	v_fma_f64 v[2:3], v[14:15], v[22:23], v[8:9]
	v_fma_f64 v[4:5], v[12:13], v[22:23], v[0:1]
	v_fma_f64 v[6:7], -v[14:15], v[22:23], v[8:9]
	v_fma_f64 v[8:9], v[12:13], v[22:23], -v[0:1]
	s_delay_alu instid0(VALU_DEP_4) | instskip(NEXT) | instid1(VALU_DEP_4)
	v_fma_f64 v[0:1], -v[12:13], v[20:21], v[2:3]
	v_fma_f64 v[2:3], v[14:15], v[20:21], v[4:5]
	s_delay_alu instid0(VALU_DEP_4) | instskip(NEXT) | instid1(VALU_DEP_4)
	v_fma_f64 v[4:5], v[12:13], v[20:21], v[6:7]
	v_fma_f64 v[6:7], v[14:15], v[20:21], v[8:9]
	ds_store_b128 v87, v[0:3] offset:528
	ds_store_b128 v11, v[4:7] offset:1232
	ds_load_b128 v[0:3], v87 offset:704
	ds_load_b128 v[4:7], v11 offset:1056
	s_wait_dscnt 0x0
	v_add_f64_e32 v[8:9], v[0:1], v[4:5]
	v_add_f64_e32 v[12:13], v[6:7], v[2:3]
	v_add_f64_e64 v[14:15], v[0:1], -v[4:5]
	v_add_f64_e64 v[0:1], v[2:3], -v[6:7]
	s_wait_loadcnt 0x0
	s_delay_alu instid0(VALU_DEP_2) | instskip(NEXT) | instid1(VALU_DEP_2)
	v_fma_f64 v[2:3], v[14:15], v[18:19], v[8:9]
	v_fma_f64 v[4:5], v[12:13], v[18:19], v[0:1]
	v_fma_f64 v[6:7], -v[14:15], v[18:19], v[8:9]
	v_fma_f64 v[8:9], v[12:13], v[18:19], -v[0:1]
	s_delay_alu instid0(VALU_DEP_4) | instskip(NEXT) | instid1(VALU_DEP_4)
	v_fma_f64 v[0:1], -v[12:13], v[16:17], v[2:3]
	v_fma_f64 v[2:3], v[14:15], v[16:17], v[4:5]
	s_delay_alu instid0(VALU_DEP_4) | instskip(NEXT) | instid1(VALU_DEP_4)
	v_fma_f64 v[4:5], v[12:13], v[16:17], v[6:7]
	v_fma_f64 v[6:7], v[14:15], v[16:17], v[8:9]
	v_lshlrev_b32_e32 v8, 5, v82
	ds_store_b128 v87, v[0:3] offset:704
	ds_store_b128 v11, v[4:7] offset:1056
	global_wb scope:SCOPE_SE
	s_wait_dscnt 0x0
	s_barrier_signal -1
	s_barrier_wait -1
	global_inv scope:SCOPE_SE
	global_wb scope:SCOPE_SE
	s_barrier_signal -1
	s_barrier_wait -1
	global_inv scope:SCOPE_SE
	ds_load_b128 v[0:3], v83 offset:880
	ds_load_b128 v[4:7], v87
	ds_load_b128 v[11:14], v83 offset:176
	ds_load_b128 v[15:18], v83 offset:1056
	ds_load_b128 v[19:22], v83 offset:1232
	ds_load_b128 v[23:26], v83 offset:352
	ds_load_b128 v[27:30], v83 offset:528
	ds_load_b128 v[31:34], v83 offset:1408
	ds_load_b128 v[37:40], v83 offset:704
	ds_load_b128 v[41:44], v83 offset:1584
	v_add3_u32 v8, v8, 0, v36
	global_wb scope:SCOPE_SE
	s_wait_dscnt 0x0
	s_barrier_signal -1
	s_barrier_wait -1
	global_inv scope:SCOPE_SE
	v_add_f64_e64 v[0:1], v[4:5], -v[0:1]
	v_add_f64_e64 v[2:3], v[6:7], -v[2:3]
	;; [unrolled: 1-line block ×10, first 2 shown]
	v_fma_f64 v[4:5], v[4:5], 2.0, -v[0:1]
	v_fma_f64 v[6:7], v[6:7], 2.0, -v[2:3]
	v_fma_f64 v[11:12], v[11:12], 2.0, -v[15:16]
	v_fma_f64 v[13:14], v[13:14], 2.0, -v[17:18]
	v_fma_f64 v[23:24], v[23:24], 2.0, -v[19:20]
	v_fma_f64 v[25:26], v[25:26], 2.0, -v[21:22]
	v_fma_f64 v[27:28], v[27:28], 2.0, -v[31:32]
	v_fma_f64 v[29:30], v[29:30], 2.0, -v[33:34]
	v_fma_f64 v[45:46], v[37:38], 2.0, -v[41:42]
	v_fma_f64 v[47:48], v[39:40], 2.0, -v[43:44]
	v_add_nc_u32_e32 v37, 11, v82
	v_and_b32_e32 v38, 1, v82
	s_delay_alu instid0(VALU_DEP_2) | instskip(SKIP_1) | instid1(VALU_DEP_3)
	v_lshlrev_b32_e32 v9, 5, v37
	v_and_b32_e32 v79, 1, v37
	v_lshlrev_b32_e32 v35, 6, v38
	v_lshrrev_b32_e32 v37, 1, v37
	s_delay_alu instid0(VALU_DEP_4)
	v_add3_u32 v9, 0, v9, v36
	ds_store_b128 v10, v[4:7]
	ds_store_b128 v10, v[0:3] offset:16
	ds_store_b128 v9, v[11:14]
	ds_store_b128 v9, v[15:18] offset:16
	ds_store_b128 v8, v[23:26] offset:704
	;; [unrolled: 1-line block ×7, first 2 shown]
	v_lshlrev_b32_e32 v28, 6, v79
	global_wb scope:SCOPE_SE
	s_wait_dscnt 0x0
	s_barrier_signal -1
	s_barrier_wait -1
	global_inv scope:SCOPE_SE
	s_clause 0x7
	global_load_b128 v[0:3], v35, s[8:9]
	global_load_b128 v[4:7], v35, s[8:9] offset:16
	global_load_b128 v[8:11], v35, s[8:9] offset:32
	global_load_b128 v[12:15], v35, s[8:9] offset:48
	global_load_b128 v[16:19], v28, s[8:9]
	global_load_b128 v[20:23], v28, s[8:9] offset:16
	global_load_b128 v[24:27], v28, s[8:9] offset:32
	;; [unrolled: 1-line block ×3, first 2 shown]
	ds_load_b128 v[32:35], v83 offset:352
	ds_load_b128 v[39:42], v83 offset:704
	;; [unrolled: 1-line block ×8, first 2 shown]
	v_mul_u32_u24_e32 v37, 10, v37
	s_delay_alu instid0(VALU_DEP_1) | instskip(NEXT) | instid1(VALU_DEP_1)
	v_or_b32_e32 v37, v37, v79
	v_lshlrev_b32_e32 v37, 4, v37
	s_wait_loadcnt_dscnt 0x404
	v_mul_f64_e32 v[73:74], v[49:50], v[14:15]
	v_mul_f64_e32 v[67:68], v[34:35], v[2:3]
	;; [unrolled: 1-line block ×8, first 2 shown]
	s_wait_loadcnt_dscnt 0x303
	v_mul_f64_e32 v[75:76], v[53:54], v[18:19]
	s_wait_loadcnt_dscnt 0x202
	v_mul_f64_e32 v[77:78], v[57:58], v[22:23]
	;; [unrolled: 2-line block ×3, first 2 shown]
	v_mul_f64_e32 v[22:23], v[55:56], v[22:23]
	s_wait_loadcnt_dscnt 0x0
	v_mul_f64_e32 v[90:91], v[65:66], v[30:31]
	v_mul_f64_e32 v[26:27], v[59:60], v[26:27]
	;; [unrolled: 1-line block ×4, first 2 shown]
	v_fma_f64 v[47:48], v[47:48], v[12:13], -v[73:74]
	v_fma_f64 v[32:33], v[32:33], v[0:1], -v[67:68]
	;; [unrolled: 1-line block ×4, first 2 shown]
	v_fma_f64 v[34:35], v[34:35], v[0:1], v[2:3]
	v_fma_f64 v[41:42], v[41:42], v[4:5], v[6:7]
	v_fma_f64 v[8:9], v[45:46], v[8:9], v[10:11]
	v_fma_f64 v[10:11], v[49:50], v[12:13], v[14:15]
	v_fma_f64 v[12:13], v[51:52], v[16:17], -v[75:76]
	v_fma_f64 v[14:15], v[55:56], v[20:21], -v[77:78]
	;; [unrolled: 1-line block ×3, first 2 shown]
	v_fma_f64 v[20:21], v[57:58], v[20:21], v[22:23]
	v_fma_f64 v[22:23], v[63:64], v[28:29], -v[90:91]
	v_fma_f64 v[24:25], v[61:62], v[24:25], v[26:27]
	v_fma_f64 v[16:17], v[53:54], v[16:17], v[18:19]
	;; [unrolled: 1-line block ×3, first 2 shown]
	ds_load_b128 v[0:3], v87
	ds_load_b128 v[4:7], v83 offset:176
	global_wb scope:SCOPE_SE
	s_wait_dscnt 0x0
	s_barrier_signal -1
	s_barrier_wait -1
	global_inv scope:SCOPE_SE
	v_add_f64_e32 v[28:29], v[32:33], v[47:48]
	v_add_f64_e32 v[59:60], v[0:1], v[32:33]
	;; [unrolled: 1-line block ×4, first 2 shown]
	v_add_f64_e64 v[71:72], v[32:33], -v[47:48]
	v_add_f64_e32 v[30:31], v[41:42], v[8:9]
	v_add_f64_e32 v[49:50], v[34:35], v[10:11]
	;; [unrolled: 1-line block ×3, first 2 shown]
	v_add_f64_e64 v[67:68], v[34:35], -v[10:11]
	v_add_f64_e32 v[51:52], v[14:15], v[45:46]
	v_add_f64_e64 v[69:70], v[41:42], -v[8:9]
	v_add_f64_e32 v[53:54], v[12:13], v[22:23]
	v_add_f64_e32 v[55:56], v[20:21], v[24:25]
	;; [unrolled: 1-line block ×4, first 2 shown]
	v_add_f64_e64 v[73:74], v[16:17], -v[18:19]
	v_add_f64_e64 v[75:76], v[12:13], -v[22:23]
	;; [unrolled: 1-line block ×16, first 2 shown]
	v_fma_f64 v[26:27], v[26:27], -0.5, v[0:1]
	v_fma_f64 v[0:1], v[28:29], -0.5, v[0:1]
	v_add_f64_e64 v[28:29], v[39:40], -v[43:44]
	v_fma_f64 v[30:31], v[30:31], -0.5, v[2:3]
	v_fma_f64 v[2:3], v[49:50], -0.5, v[2:3]
	v_add_f64_e64 v[49:50], v[20:21], -v[24:25]
	v_add_f64_e32 v[41:42], v[61:62], v[41:42]
	v_fma_f64 v[51:52], v[51:52], -0.5, v[4:5]
	v_fma_f64 v[4:5], v[53:54], -0.5, v[4:5]
	v_add_f64_e64 v[53:54], v[14:15], -v[45:46]
	v_fma_f64 v[55:56], v[55:56], -0.5, v[6:7]
	v_fma_f64 v[6:7], v[57:58], -0.5, v[6:7]
	v_add_f64_e64 v[57:58], v[32:33], -v[39:40]
	v_add_f64_e64 v[32:33], v[39:40], -v[32:33]
	v_add_f64_e32 v[39:40], v[59:60], v[39:40]
	v_add_f64_e32 v[14:15], v[63:64], v[14:15]
	;; [unrolled: 1-line block ×5, first 2 shown]
	v_fma_f64 v[59:60], v[67:68], s[0:1], v[26:27]
	s_wait_alu 0xfffe
	v_fma_f64 v[26:27], v[67:68], s[4:5], v[26:27]
	v_fma_f64 v[61:62], v[69:70], s[4:5], v[0:1]
	;; [unrolled: 1-line block ×15, first 2 shown]
	s_mov_b32 s0, 0x4755a5e
	s_mov_b32 s1, 0x3fe2cf23
	;; [unrolled: 1-line block ×3, first 2 shown]
	s_wait_alu 0xfffe
	s_mov_b32 s4, s0
	v_add_f64_e32 v[57:58], v[57:58], v[77:78]
	v_add_f64_e32 v[32:33], v[32:33], v[88:89]
	;; [unrolled: 1-line block ×10, first 2 shown]
	v_lshrrev_b32_e32 v39, 1, v82
	s_delay_alu instid0(VALU_DEP_1)
	v_mul_u32_u24_e32 v39, 10, v39
	v_fma_f64 v[24:25], v[69:70], s[0:1], v[59:60]
	s_wait_alu 0xfffe
	v_fma_f64 v[26:27], v[69:70], s[4:5], v[26:27]
	v_fma_f64 v[42:43], v[67:68], s[0:1], v[61:62]
	;; [unrolled: 1-line block ×15, first 2 shown]
	s_mov_b32 s0, 0x372fe950
	s_mov_b32 s1, 0x3fd3c6ef
	v_or_b32_e32 v38, v39, v38
	s_delay_alu instid0(VALU_DEP_1)
	v_lshlrev_b32_e32 v38, 4, v38
	v_add_f64_e32 v[0:1], v[12:13], v[47:48]
	v_add_f64_e32 v[2:3], v[8:9], v[10:11]
	;; [unrolled: 1-line block ×4, first 2 shown]
	v_add3_u32 v38, 0, v38, v36
	v_add3_u32 v36, 0, v37, v36
	s_wait_alu 0xfffe
	v_fma_f64 v[40:41], v[57:58], s[0:1], v[24:25]
	v_fma_f64 v[8:9], v[57:58], s[0:1], v[26:27]
	;; [unrolled: 1-line block ×16, first 2 shown]
	v_cmp_gt_u32_e64 s0, 10, v82
	ds_store_b128 v38, v[0:3]
	ds_store_b128 v38, v[40:43] offset:32
	ds_store_b128 v38, v[12:15] offset:64
	;; [unrolled: 1-line block ×4, first 2 shown]
	ds_store_b128 v36, v[16:19]
	ds_store_b128 v36, v[20:23] offset:32
	ds_store_b128 v36, v[24:27] offset:64
	ds_store_b128 v36, v[28:31] offset:96
	ds_store_b128 v36, v[32:35] offset:128
	global_wb scope:SCOPE_SE
	s_wait_dscnt 0x0
	s_barrier_signal -1
	s_barrier_wait -1
	global_inv scope:SCOPE_SE
                                        ; implicit-def: $vgpr38_vgpr39
	s_and_saveexec_b32 s1, s0
	s_cbranch_execz .LBB0_20
; %bb.19:
	ds_load_b128 v[0:3], v87
	ds_load_b128 v[40:43], v83 offset:160
	ds_load_b128 v[12:15], v83 offset:320
	;; [unrolled: 1-line block ×10, first 2 shown]
.LBB0_20:
	s_wait_alu 0xfffe
	s_or_b32 exec_lo, exec_lo, s1
	global_wb scope:SCOPE_SE
	s_wait_dscnt 0x0
	s_barrier_signal -1
	s_barrier_wait -1
	global_inv scope:SCOPE_SE
	s_and_saveexec_b32 s33, s0
	s_cbranch_execz .LBB0_22
; %bb.21:
	v_dual_mov_b32 v45, 0 :: v_dual_add_nc_u32 v44, -10, v82
	s_mov_b32 s4, 0xd9c712b6
	s_mov_b32 s10, 0x8eee2c13
	;; [unrolled: 1-line block ×3, first 2 shown]
	s_delay_alu instid0(VALU_DEP_1)
	v_cndmask_b32_e64 v44, v44, v82, s0
	s_mov_b32 s18, 0xbb3a28a1
	s_mov_b32 s12, 0x9bcd5057
	;; [unrolled: 1-line block ×4, first 2 shown]
	v_mul_i32_i24_e32 v44, 10, v44
	s_mov_b32 s11, 0xbfed1bb4
	s_mov_b32 s15, 0xbfe4f49e
	;; [unrolled: 1-line block ×4, first 2 shown]
	v_lshlrev_b64_e32 v[44:45], 4, v[44:45]
	s_mov_b32 s21, 0x3fd207e7
	s_mov_b32 s23, 0xbfd207e7
	s_mov_b32 s25, 0xbfe82f19
	s_wait_alu 0xfffe
	s_mov_b32 s22, s20
	s_mov_b32 s24, s18
	v_add_co_u32 v72, s0, s8, v44
	s_wait_alu 0xf1ff
	v_add_co_ci_u32_e64 v73, s0, s9, v45, s0
	s_mov_b32 s0, 0x640f44db
	s_mov_b32 s1, 0xbfc2375f
	;; [unrolled: 1-line block ×3, first 2 shown]
	s_clause 0x9
	global_load_b128 v[88:91], v[72:73], off offset:128
	global_load_b128 v[76:79], v[72:73], off offset:144
	;; [unrolled: 1-line block ×10, first 2 shown]
	s_mov_b32 s9, 0x3fefac9e
	s_mov_b32 s31, 0xbfefac9e
	s_wait_alu 0xfffe
	s_mov_b32 s30, s8
	s_mov_b32 s16, 0x8764f0ba
	;; [unrolled: 1-line block ×8, first 2 shown]
	s_wait_alu 0xfffe
	s_mov_b32 s28, s26
	s_wait_loadcnt 0x9
	v_mul_f64_e32 v[92:93], v[40:41], v[90:91]
	v_mul_f64_e32 v[90:91], v[42:43], v[90:91]
	s_wait_loadcnt 0x8
	v_mul_f64_e32 v[94:95], v[12:13], v[78:79]
	v_mul_f64_e32 v[78:79], v[14:15], v[78:79]
	s_wait_loadcnt 0x6
	v_mul_f64_e32 v[96:97], v[16:17], v[66:67]
	v_mul_f64_e32 v[66:67], v[18:19], v[66:67]
	s_wait_loadcnt 0x5
	v_mul_f64_e32 v[98:99], v[20:21], v[62:63]
	s_wait_loadcnt 0x2
	v_mul_f64_e32 v[100:101], v[4:5], v[46:47]
	;; [unrolled: 2-line block ×3, first 2 shown]
	v_mul_f64_e32 v[46:47], v[6:7], v[46:47]
	v_mul_f64_e32 v[50:51], v[30:31], v[50:51]
	s_wait_loadcnt 0x0
	v_mul_f64_e32 v[104:105], v[32:33], v[74:75]
	v_mul_f64_e32 v[74:75], v[34:35], v[74:75]
	;; [unrolled: 1-line block ×3, first 2 shown]
	v_fma_f64 v[42:43], v[42:43], v[88:89], v[92:93]
	v_fma_f64 v[40:41], v[40:41], v[88:89], -v[90:91]
	v_mul_f64_e32 v[92:93], v[36:37], v[70:71]
	v_mul_f64_e32 v[88:89], v[8:9], v[58:59]
	;; [unrolled: 1-line block ×4, first 2 shown]
	v_fma_f64 v[94:95], v[14:15], v[76:77], v[94:95]
	v_fma_f64 v[76:77], v[12:13], v[76:77], -v[78:79]
	v_mul_f64_e32 v[70:71], v[38:39], v[70:71]
	v_mul_f64_e32 v[58:59], v[10:11], v[58:59]
	v_fma_f64 v[12:13], v[28:29], v[48:49], -v[50:51]
	v_fma_f64 v[22:23], v[22:23], v[60:61], v[98:99]
	v_fma_f64 v[20:21], v[20:21], v[60:61], -v[62:63]
	v_add_f64_e32 v[106:107], v[2:3], v[42:43]
	v_add_f64_e32 v[78:79], v[0:1], v[40:41]
	v_fma_f64 v[14:15], v[38:39], v[68:69], v[92:93]
	v_fma_f64 v[38:39], v[18:19], v[64:65], v[96:97]
	;; [unrolled: 1-line block ×6, first 2 shown]
	v_fma_f64 v[30:31], v[16:17], v[64:65], -v[66:67]
	v_fma_f64 v[16:17], v[24:25], v[52:53], -v[54:55]
	v_fma_f64 v[24:25], v[4:5], v[44:45], -v[46:47]
	v_fma_f64 v[6:7], v[36:37], v[68:69], -v[70:71]
	v_fma_f64 v[36:37], v[8:9], v[56:57], -v[58:59]
	v_fma_f64 v[8:9], v[34:35], v[72:73], v[104:105]
	v_fma_f64 v[4:5], v[32:33], v[72:73], -v[74:75]
	v_add_f64_e32 v[28:29], v[106:107], v[94:95]
	v_add_f64_e32 v[44:45], v[78:79], v[76:77]
	;; [unrolled: 1-line block ×3, first 2 shown]
	v_add_f64_e64 v[34:35], v[42:43], -v[14:15]
	v_add_f64_e32 v[42:43], v[38:39], v[22:23]
	v_add_f64_e32 v[46:47], v[88:89], v[18:19]
	v_add_f64_e64 v[72:73], v[88:89], -v[18:19]
	v_add_f64_e32 v[48:49], v[26:27], v[10:11]
	v_add_f64_e64 v[66:67], v[26:27], -v[10:11]
	v_add_f64_e64 v[54:55], v[30:31], -v[20:21]
	;; [unrolled: 1-line block ×4, first 2 shown]
	v_add_f64_e32 v[40:41], v[40:41], v[6:7]
	v_add_f64_e32 v[52:53], v[94:95], v[8:9]
	v_add_f64_e64 v[60:61], v[76:77], -v[4:5]
	v_add_f64_e64 v[62:63], v[94:95], -v[8:9]
	v_add_f64_e32 v[64:65], v[76:77], v[4:5]
	v_add_f64_e64 v[56:57], v[36:37], -v[16:17]
	v_add_f64_e32 v[74:75], v[36:37], v[16:17]
	;; [unrolled: 2-line block ×3, first 2 shown]
	v_add_f64_e32 v[26:27], v[28:29], v[26:27]
	v_add_f64_e32 v[28:29], v[24:25], v[12:13]
	;; [unrolled: 1-line block ×3, first 2 shown]
	v_mul_f64_e32 v[76:77], s[12:13], v[32:33]
	v_mul_f64_e32 v[78:79], s[22:23], v[34:35]
	;; [unrolled: 1-line block ×20, first 2 shown]
	s_wait_alu 0xfffe
	v_mul_f64_e32 v[130:131], s[28:29], v[62:63]
	v_mul_f64_e32 v[132:133], s[8:9], v[62:63]
	;; [unrolled: 1-line block ×15, first 2 shown]
	v_add_f64_e32 v[26:27], v[26:27], v[88:89]
	v_mul_f64_e32 v[88:89], s[24:25], v[62:63]
	v_add_f64_e32 v[24:25], v[24:25], v[36:37]
	v_fma_f64 v[156:157], v[50:51], s[20:21], v[76:77]
	v_fma_f64 v[36:37], v[40:41], s[12:13], v[78:79]
	;; [unrolled: 1-line block ×10, first 2 shown]
	v_fma_f64 v[100:101], v[40:41], s[4:5], -v[100:101]
	v_mul_f64_e32 v[62:63], s[10:11], v[62:63]
	v_fma_f64 v[78:79], v[40:41], s[12:13], -v[78:79]
	v_fma_f64 v[92:93], v[40:41], s[14:15], -v[92:93]
	v_fma_f64 v[164:165], v[40:41], s[0:1], v[96:97]
	v_fma_f64 v[94:95], v[50:51], s[30:31], v[94:95]
	v_fma_f64 v[96:97], v[40:41], s[0:1], -v[96:97]
	v_fma_f64 v[170:171], v[50:51], s[28:29], v[32:33]
	v_fma_f64 v[172:173], v[40:41], s[16:17], v[34:35]
	;; [unrolled: 1-line block ×3, first 2 shown]
	v_fma_f64 v[34:35], v[40:41], s[16:17], -v[34:35]
	v_fma_f64 v[40:41], v[58:59], s[18:19], v[114:115]
	v_fma_f64 v[50:51], v[58:59], s[28:29], v[116:117]
	;; [unrolled: 1-line block ×12, first 2 shown]
	v_fma_f64 v[132:133], v[64:65], s[0:1], -v[132:133]
	v_fma_f64 v[186:187], v[64:65], s[12:13], v[134:135]
	v_add_f64_e32 v[26:27], v[26:27], v[38:39]
	v_fma_f64 v[38:39], v[58:59], s[24:25], v[114:115]
	v_add_f64_e32 v[24:25], v[24:25], v[30:31]
	v_fma_f64 v[114:115], v[58:59], s[26:27], v[116:117]
	v_fma_f64 v[116:117], v[58:59], s[10:11], v[118:119]
	;; [unrolled: 1-line block ×9, first 2 shown]
	v_add_f64_e32 v[36:37], v[0:1], v[36:37]
	v_fma_f64 v[188:189], v[64:65], s[14:15], v[88:89]
	v_fma_f64 v[88:89], v[64:65], s[14:15], -v[88:89]
	v_add_f64_e32 v[76:77], v[2:3], v[76:77]
	v_add_f64_e32 v[160:161], v[0:1], v[160:161]
	;; [unrolled: 1-line block ×6, first 2 shown]
	v_fma_f64 v[130:131], v[64:65], s[16:17], -v[130:131]
	v_add_f64_e32 v[156:157], v[2:3], v[156:157]
	v_fma_f64 v[134:135], v[64:65], s[12:13], -v[134:135]
	v_fma_f64 v[190:191], v[64:65], s[4:5], v[62:63]
	v_fma_f64 v[62:63], v[64:65], s[4:5], -v[62:63]
	v_add_f64_e32 v[64:65], v[0:1], v[78:79]
	v_add_f64_e32 v[92:93], v[0:1], v[92:93]
	;; [unrolled: 1-line block ×13, first 2 shown]
	v_mul_f64_e32 v[150:151], s[26:27], v[72:73]
	v_add_f64_e32 v[20:21], v[24:25], v[20:21]
	v_mul_f64_e32 v[152:153], s[8:9], v[72:73]
	v_fma_f64 v[78:79], v[28:29], s[14:15], v[136:137]
	v_fma_f64 v[26:27], v[28:29], s[16:17], v[138:139]
	;; [unrolled: 1-line block ×3, first 2 shown]
	v_fma_f64 v[34:35], v[28:29], s[4:5], -v[140:141]
	v_fma_f64 v[140:141], v[28:29], s[12:13], v[142:143]
	v_fma_f64 v[142:143], v[28:29], s[12:13], -v[142:143]
	v_mul_f64_e32 v[72:73], s[24:25], v[72:73]
	v_fma_f64 v[136:137], v[28:29], s[14:15], -v[136:137]
	v_add_f64_e32 v[36:37], v[60:61], v[36:37]
	v_fma_f64 v[138:139], v[28:29], s[16:17], -v[138:139]
	v_fma_f64 v[172:173], v[28:29], s[0:1], v[66:67]
	v_add_f64_e32 v[76:77], v[122:123], v[76:77]
	v_add_f64_e32 v[160:161], v[184:185], v[160:161]
	;; [unrolled: 1-line block ×6, first 2 shown]
	v_fma_f64 v[28:29], v[28:29], s[0:1], -v[66:67]
	v_add_f64_e32 v[58:59], v[58:59], v[156:157]
	v_mul_f64_e32 v[102:103], s[0:1], v[42:43]
	v_mul_f64_e32 v[44:45], s[4:5], v[42:43]
	;; [unrolled: 1-line block ×3, first 2 shown]
	v_add_f64_e32 v[64:65], v[130:131], v[64:65]
	v_add_f64_e32 v[92:93], v[132:133], v[92:93]
	;; [unrolled: 1-line block ×13, first 2 shown]
	v_mul_f64_e32 v[106:107], s[16:17], v[42:43]
	v_add_f64_e32 v[16:17], v[20:21], v[16:17]
	v_mul_f64_e32 v[42:43], s[12:13], v[42:43]
	v_mul_f64_e32 v[154:155], s[30:31], v[68:69]
	;; [unrolled: 1-line block ×6, first 2 shown]
	v_fma_f64 v[178:179], v[56:57], s[10:11], v[108:109]
	v_fma_f64 v[108:109], v[56:57], s[34:35], v[108:109]
	;; [unrolled: 1-line block ×11, first 2 shown]
	v_fma_f64 v[132:133], v[74:75], s[4:5], -v[146:147]
	v_fma_f64 v[134:135], v[74:75], s[12:13], v[148:149]
	v_fma_f64 v[144:145], v[74:75], s[12:13], -v[148:149]
	v_fma_f64 v[146:147], v[74:75], s[16:17], v[150:151]
	;; [unrolled: 2-line block ×3, first 2 shown]
	v_fma_f64 v[152:153], v[74:75], s[0:1], -v[152:153]
	v_add_f64_e32 v[36:37], v[78:79], v[36:37]
	v_add_f64_e32 v[38:39], v[38:39], v[76:77]
	;; [unrolled: 1-line block ×6, first 2 shown]
	v_fma_f64 v[162:163], v[74:75], s[14:15], v[72:73]
	v_fma_f64 v[72:73], v[74:75], s[14:15], -v[72:73]
	v_add_f64_e32 v[40:41], v[40:41], v[58:59]
	v_add_f64_e32 v[58:59], v[136:137], v[64:65]
	;; [unrolled: 1-line block ×16, first 2 shown]
	v_fma_f64 v[122:123], v[54:55], s[8:9], v[102:103]
	v_fma_f64 v[102:103], v[54:55], s[30:31], v[102:103]
	v_fma_f64 v[130:131], v[54:55], s[10:11], v[44:45]
	v_fma_f64 v[44:45], v[54:55], s[34:35], v[44:45]
	v_fma_f64 v[32:33], v[54:55], s[18:19], v[104:105]
	v_fma_f64 v[48:49], v[54:55], s[24:25], v[104:105]
	v_fma_f64 v[96:97], v[54:55], s[26:27], v[106:107]
	v_fma_f64 v[98:99], v[54:55], s[28:29], v[106:107]
	v_fma_f64 v[100:101], v[54:55], s[20:21], v[42:43]
	v_fma_f64 v[54:55], v[54:55], s[22:23], v[42:43]
	v_fma_f64 v[16:17], v[70:71], s[0:1], v[154:155]
	v_fma_f64 v[18:19], v[70:71], s[0:1], -v[154:155]
	v_fma_f64 v[42:43], v[70:71], s[4:5], v[66:67]
	v_fma_f64 v[66:67], v[70:71], s[4:5], -v[66:67]
	v_fma_f64 v[104:105], v[70:71], s[14:15], v[156:157]
	;; [unrolled: 2-line block ×4, first 2 shown]
	v_fma_f64 v[68:69], v[70:71], s[12:13], -v[68:69]
	v_add_f64_e32 v[36:37], v[56:57], v[36:37]
	v_add_f64_e32 v[26:27], v[134:135], v[26:27]
	;; [unrolled: 1-line block ×44, first 2 shown]
	ds_store_b128 v83, v[32:35] offset:320
	ds_store_b128 v83, v[28:31] offset:480
	;; [unrolled: 1-line block ×9, first 2 shown]
	ds_store_b128 v87, v[12:15]
	ds_store_b128 v83, v[40:43] offset:1600
.LBB0_22:
	s_or_b32 exec_lo, exec_lo, s33
	global_wb scope:SCOPE_SE
	s_wait_dscnt 0x0
	s_barrier_signal -1
	s_barrier_wait -1
	global_inv scope:SCOPE_SE
	s_and_saveexec_b32 s0, vcc_lo
	s_cbranch_execz .LBB0_24
; %bb.23:
	v_mul_lo_u32 v2, s3, v84
	v_mul_lo_u32 v3, s2, v85
	v_mad_co_u64_u32 v[0:1], null, s2, v84, 0
	v_dual_mov_b32 v83, 0 :: v_dual_add_nc_u32 v10, 11, v82
	v_lshlrev_b64_e32 v[8:9], 4, v[80:81]
	v_lshl_add_u32 v34, v82, 4, v86
	s_delay_alu instid0(VALU_DEP_3) | instskip(SKIP_4) | instid1(VALU_DEP_4)
	v_dual_mov_b32 v11, v83 :: v_dual_add_nc_u32 v12, 22, v82
	v_add3_u32 v1, v1, v3, v2
	v_lshlrev_b64_e32 v[14:15], 4, v[82:83]
	v_dual_mov_b32 v13, v83 :: v_dual_add_nc_u32 v22, 33, v82
	v_dual_mov_b32 v23, v83 :: v_dual_add_nc_u32 v24, 44, v82
	v_lshlrev_b64_e32 v[16:17], 4, v[0:1]
	ds_load_b128 v[0:3], v34
	ds_load_b128 v[4:7], v34 offset:176
	v_mov_b32_e32 v25, v83
	v_lshlrev_b64_e32 v[22:23], 4, v[22:23]
	v_add_co_u32 v18, vcc_lo, s6, v16
	s_wait_alu 0xfffd
	v_add_co_ci_u32_e32 v19, vcc_lo, s7, v17, vcc_lo
	v_lshlrev_b64_e32 v[16:17], 4, v[10:11]
	s_delay_alu instid0(VALU_DEP_3) | instskip(SKIP_1) | instid1(VALU_DEP_3)
	v_add_co_u32 v36, vcc_lo, v18, v8
	s_wait_alu 0xfffd
	v_add_co_ci_u32_e32 v37, vcc_lo, v19, v9, vcc_lo
	v_lshlrev_b64_e32 v[18:19], 4, v[12:13]
	s_delay_alu instid0(VALU_DEP_3) | instskip(SKIP_1) | instid1(VALU_DEP_3)
	v_add_co_u32 v20, vcc_lo, v36, v14
	s_wait_alu 0xfffd
	v_add_co_ci_u32_e32 v21, vcc_lo, v37, v15, vcc_lo
	ds_load_b128 v[8:11], v34 offset:352
	ds_load_b128 v[12:15], v34 offset:528
	v_add_co_u32 v16, vcc_lo, v36, v16
	s_wait_alu 0xfffd
	v_add_co_ci_u32_e32 v17, vcc_lo, v37, v17, vcc_lo
	v_add_co_u32 v18, vcc_lo, v36, v18
	s_wait_alu 0xfffd
	v_add_co_ci_u32_e32 v19, vcc_lo, v37, v19, vcc_lo
	v_add_co_u32 v22, vcc_lo, v36, v22
	s_wait_dscnt 0x3
	global_store_b128 v[20:21], v[0:3], off
	s_wait_dscnt 0x2
	global_store_b128 v[16:17], v[4:7], off
	v_dual_mov_b32 v3, v83 :: v_dual_add_nc_u32 v2, 55, v82
	s_wait_alu 0xfffd
	v_add_co_ci_u32_e32 v23, vcc_lo, v37, v23, vcc_lo
	v_lshlrev_b64_e32 v[0:1], 4, v[24:25]
	s_wait_dscnt 0x1
	global_store_b128 v[18:19], v[8:11], off
	s_wait_dscnt 0x0
	global_store_b128 v[22:23], v[12:15], off
	v_add_nc_u32_e32 v10, 0x42, v82
	v_lshlrev_b64_e32 v[8:9], 4, v[2:3]
	v_add_co_u32 v24, vcc_lo, v36, v0
	v_dual_mov_b32 v11, v83 :: v_dual_add_nc_u32 v16, 0x4d, v82
	s_wait_alu 0xfffd
	v_add_co_ci_u32_e32 v25, vcc_lo, v37, v1, vcc_lo
	s_delay_alu instid0(VALU_DEP_4)
	v_add_co_u32 v26, vcc_lo, v36, v8
	s_wait_alu 0xfffd
	v_add_co_ci_u32_e32 v27, vcc_lo, v37, v9, vcc_lo
	v_lshlrev_b64_e32 v[8:9], 4, v[10:11]
	v_dual_mov_b32 v17, v83 :: v_dual_add_nc_u32 v18, 0x58, v82
	v_dual_mov_b32 v19, v83 :: v_dual_add_nc_u32 v82, 0x63, v82
	ds_load_b128 v[0:3], v34 offset:704
	ds_load_b128 v[4:7], v34 offset:880
	v_add_co_u32 v28, vcc_lo, v36, v8
	s_wait_alu 0xfffd
	v_add_co_ci_u32_e32 v29, vcc_lo, v37, v9, vcc_lo
	ds_load_b128 v[8:11], v34 offset:1056
	ds_load_b128 v[12:15], v34 offset:1232
	v_lshlrev_b64_e32 v[30:31], 4, v[16:17]
	v_lshlrev_b64_e32 v[32:33], 4, v[18:19]
	ds_load_b128 v[16:19], v34 offset:1408
	ds_load_b128 v[20:23], v34 offset:1584
	v_lshlrev_b64_e32 v[34:35], 4, v[82:83]
	v_add_co_u32 v30, vcc_lo, v36, v30
	s_wait_alu 0xfffd
	v_add_co_ci_u32_e32 v31, vcc_lo, v37, v31, vcc_lo
	v_add_co_u32 v32, vcc_lo, v36, v32
	s_wait_alu 0xfffd
	v_add_co_ci_u32_e32 v33, vcc_lo, v37, v33, vcc_lo
	;; [unrolled: 3-line block ×3, first 2 shown]
	s_wait_dscnt 0x5
	global_store_b128 v[24:25], v[0:3], off
	s_wait_dscnt 0x4
	global_store_b128 v[26:27], v[4:7], off
	;; [unrolled: 2-line block ×6, first 2 shown]
.LBB0_24:
	s_nop 0
	s_sendmsg sendmsg(MSG_DEALLOC_VGPRS)
	s_endpgm
	.section	.rodata,"a",@progbits
	.p2align	6, 0x0
	.amdhsa_kernel fft_rtc_fwd_len110_factors_2_5_11_wgs_198_tpt_11_dp_op_CI_CI_unitstride_sbrr_C2R_dirReg
		.amdhsa_group_segment_fixed_size 0
		.amdhsa_private_segment_fixed_size 0
		.amdhsa_kernarg_size 104
		.amdhsa_user_sgpr_count 2
		.amdhsa_user_sgpr_dispatch_ptr 0
		.amdhsa_user_sgpr_queue_ptr 0
		.amdhsa_user_sgpr_kernarg_segment_ptr 1
		.amdhsa_user_sgpr_dispatch_id 0
		.amdhsa_user_sgpr_private_segment_size 0
		.amdhsa_wavefront_size32 1
		.amdhsa_uses_dynamic_stack 0
		.amdhsa_enable_private_segment 0
		.amdhsa_system_sgpr_workgroup_id_x 1
		.amdhsa_system_sgpr_workgroup_id_y 0
		.amdhsa_system_sgpr_workgroup_id_z 0
		.amdhsa_system_sgpr_workgroup_info 0
		.amdhsa_system_vgpr_workitem_id 0
		.amdhsa_next_free_vgpr 192
		.amdhsa_next_free_sgpr 39
		.amdhsa_reserve_vcc 1
		.amdhsa_float_round_mode_32 0
		.amdhsa_float_round_mode_16_64 0
		.amdhsa_float_denorm_mode_32 3
		.amdhsa_float_denorm_mode_16_64 3
		.amdhsa_fp16_overflow 0
		.amdhsa_workgroup_processor_mode 1
		.amdhsa_memory_ordered 1
		.amdhsa_forward_progress 0
		.amdhsa_round_robin_scheduling 0
		.amdhsa_exception_fp_ieee_invalid_op 0
		.amdhsa_exception_fp_denorm_src 0
		.amdhsa_exception_fp_ieee_div_zero 0
		.amdhsa_exception_fp_ieee_overflow 0
		.amdhsa_exception_fp_ieee_underflow 0
		.amdhsa_exception_fp_ieee_inexact 0
		.amdhsa_exception_int_div_zero 0
	.end_amdhsa_kernel
	.text
.Lfunc_end0:
	.size	fft_rtc_fwd_len110_factors_2_5_11_wgs_198_tpt_11_dp_op_CI_CI_unitstride_sbrr_C2R_dirReg, .Lfunc_end0-fft_rtc_fwd_len110_factors_2_5_11_wgs_198_tpt_11_dp_op_CI_CI_unitstride_sbrr_C2R_dirReg
                                        ; -- End function
	.section	.AMDGPU.csdata,"",@progbits
; Kernel info:
; codeLenInByte = 8064
; NumSgprs: 41
; NumVgprs: 192
; ScratchSize: 0
; MemoryBound: 0
; FloatMode: 240
; IeeeMode: 1
; LDSByteSize: 0 bytes/workgroup (compile time only)
; SGPRBlocks: 5
; VGPRBlocks: 23
; NumSGPRsForWavesPerEU: 41
; NumVGPRsForWavesPerEU: 192
; Occupancy: 8
; WaveLimiterHint : 1
; COMPUTE_PGM_RSRC2:SCRATCH_EN: 0
; COMPUTE_PGM_RSRC2:USER_SGPR: 2
; COMPUTE_PGM_RSRC2:TRAP_HANDLER: 0
; COMPUTE_PGM_RSRC2:TGID_X_EN: 1
; COMPUTE_PGM_RSRC2:TGID_Y_EN: 0
; COMPUTE_PGM_RSRC2:TGID_Z_EN: 0
; COMPUTE_PGM_RSRC2:TIDIG_COMP_CNT: 0
	.text
	.p2alignl 7, 3214868480
	.fill 96, 4, 3214868480
	.type	__hip_cuid_b63a713f989f416b,@object ; @__hip_cuid_b63a713f989f416b
	.section	.bss,"aw",@nobits
	.globl	__hip_cuid_b63a713f989f416b
__hip_cuid_b63a713f989f416b:
	.byte	0                               ; 0x0
	.size	__hip_cuid_b63a713f989f416b, 1

	.ident	"AMD clang version 19.0.0git (https://github.com/RadeonOpenCompute/llvm-project roc-6.4.0 25133 c7fe45cf4b819c5991fe208aaa96edf142730f1d)"
	.section	".note.GNU-stack","",@progbits
	.addrsig
	.addrsig_sym __hip_cuid_b63a713f989f416b
	.amdgpu_metadata
---
amdhsa.kernels:
  - .args:
      - .actual_access:  read_only
        .address_space:  global
        .offset:         0
        .size:           8
        .value_kind:     global_buffer
      - .offset:         8
        .size:           8
        .value_kind:     by_value
      - .actual_access:  read_only
        .address_space:  global
        .offset:         16
        .size:           8
        .value_kind:     global_buffer
      - .actual_access:  read_only
        .address_space:  global
        .offset:         24
        .size:           8
        .value_kind:     global_buffer
      - .actual_access:  read_only
        .address_space:  global
        .offset:         32
        .size:           8
        .value_kind:     global_buffer
      - .offset:         40
        .size:           8
        .value_kind:     by_value
      - .actual_access:  read_only
        .address_space:  global
        .offset:         48
        .size:           8
        .value_kind:     global_buffer
      - .actual_access:  read_only
        .address_space:  global
        .offset:         56
        .size:           8
        .value_kind:     global_buffer
      - .offset:         64
        .size:           4
        .value_kind:     by_value
      - .actual_access:  read_only
        .address_space:  global
        .offset:         72
        .size:           8
        .value_kind:     global_buffer
      - .actual_access:  read_only
        .address_space:  global
        .offset:         80
        .size:           8
        .value_kind:     global_buffer
      - .actual_access:  read_only
        .address_space:  global
        .offset:         88
        .size:           8
        .value_kind:     global_buffer
      - .actual_access:  write_only
        .address_space:  global
        .offset:         96
        .size:           8
        .value_kind:     global_buffer
    .group_segment_fixed_size: 0
    .kernarg_segment_align: 8
    .kernarg_segment_size: 104
    .language:       OpenCL C
    .language_version:
      - 2
      - 0
    .max_flat_workgroup_size: 198
    .name:           fft_rtc_fwd_len110_factors_2_5_11_wgs_198_tpt_11_dp_op_CI_CI_unitstride_sbrr_C2R_dirReg
    .private_segment_fixed_size: 0
    .sgpr_count:     41
    .sgpr_spill_count: 0
    .symbol:         fft_rtc_fwd_len110_factors_2_5_11_wgs_198_tpt_11_dp_op_CI_CI_unitstride_sbrr_C2R_dirReg.kd
    .uniform_work_group_size: 1
    .uses_dynamic_stack: false
    .vgpr_count:     192
    .vgpr_spill_count: 0
    .wavefront_size: 32
    .workgroup_processor_mode: 1
amdhsa.target:   amdgcn-amd-amdhsa--gfx1201
amdhsa.version:
  - 1
  - 2
...

	.end_amdgpu_metadata
